;; amdgpu-corpus repo=ROCm/rocFFT kind=compiled arch=gfx1030 opt=O3
	.text
	.amdgcn_target "amdgcn-amd-amdhsa--gfx1030"
	.amdhsa_code_object_version 6
	.protected	bluestein_single_back_len1617_dim1_sp_op_CI_CI ; -- Begin function bluestein_single_back_len1617_dim1_sp_op_CI_CI
	.globl	bluestein_single_back_len1617_dim1_sp_op_CI_CI
	.p2align	8
	.type	bluestein_single_back_len1617_dim1_sp_op_CI_CI,@function
bluestein_single_back_len1617_dim1_sp_op_CI_CI: ; @bluestein_single_back_len1617_dim1_sp_op_CI_CI
; %bb.0:
	s_load_dwordx4 s[8:11], s[4:5], 0x28
	v_mul_u32_u24_e32 v1, 0x11c, v0
	v_mov_b32_e32 v67, 0
	s_mov_b32 s0, exec_lo
	v_lshrrev_b32_e32 v1, 16, v1
	v_add_nc_u32_e32 v66, s6, v1
	s_waitcnt lgkmcnt(0)
	v_cmpx_gt_u64_e64 s[8:9], v[66:67]
	s_cbranch_execz .LBB0_23
; %bb.1:
	s_clause 0x1
	s_load_dwordx4 s[0:3], s[4:5], 0x18
	s_load_dwordx2 s[6:7], s[4:5], 0x0
	v_mul_lo_u16 v1, 0xe7, v1
	v_sub_nc_u16 v19, v0, v1
	v_and_b32_e32 v88, 0xffff, v19
	v_lshlrev_b32_e32 v85, 3, v88
	s_waitcnt lgkmcnt(0)
	s_load_dwordx4 s[12:15], s[0:1], 0x0
	s_clause 0x1
	global_load_dwordx2 v[67:68], v85, s[6:7]
	global_load_dwordx2 v[69:70], v85, s[6:7] offset:1848
	v_add_co_u32 v86, s0, s6, v85
	v_add_co_ci_u32_e64 v87, null, s7, 0, s0
	v_add_co_u32 v2, vcc_lo, 0x1000, v86
	v_add_co_ci_u32_e32 v3, vcc_lo, 0, v87, vcc_lo
	v_add_co_u32 v6, vcc_lo, 0x2000, v86
	v_add_co_ci_u32_e32 v7, vcc_lo, 0, v87, vcc_lo
	global_load_dwordx2 v[77:78], v[2:3], off offset:216
	v_add_co_u32 v64, vcc_lo, 0x1800, v86
	global_load_dwordx2 v[71:72], v[6:7], off offset:432
	s_waitcnt lgkmcnt(0)
	v_mad_u64_u32 v[0:1], null, s14, v66, 0
	v_mad_u64_u32 v[4:5], null, s12, v88, 0
	v_add_co_ci_u32_e32 v65, vcc_lo, 0, v87, vcc_lo
	s_mul_i32 s1, s13, 0x21b
	s_mul_hi_u32 s7, s12, 0x21b
	v_mad_u64_u32 v[8:9], null, s15, v66, v[1:2]
	v_mad_u64_u32 v[2:3], null, s13, v88, v[5:6]
	v_add_co_u32 v9, vcc_lo, 0x2800, v86
	v_add_co_ci_u32_e32 v10, vcc_lo, 0, v87, vcc_lo
	v_mov_b32_e32 v1, v8
	s_mul_i32 s0, s12, 0x21b
	v_mov_b32_e32 v5, v2
	s_mul_hi_u32 s9, s12, 0xfffffcb1
	s_add_i32 s1, s7, s1
	v_lshlrev_b64 v[0:1], 3, v[0:1]
	s_mul_i32 s8, s13, 0xfffffcb1
	v_lshlrev_b64 v[2:3], 3, v[4:5]
	s_mul_i32 s6, s12, 0xfffffcb1
	s_sub_i32 s7, s9, s12
	s_lshl_b64 s[12:13], s[0:1], 3
	v_add_co_u32 v0, vcc_lo, s10, v0
	v_add_co_ci_u32_e32 v1, vcc_lo, s11, v1, vcc_lo
	s_add_i32 s7, s7, s8
	v_add_co_u32 v0, vcc_lo, v0, v2
	v_add_co_ci_u32_e32 v1, vcc_lo, v1, v3, vcc_lo
	s_lshl_b64 s[0:1], s[6:7], 3
	v_add_co_u32 v2, vcc_lo, v0, s12
	v_add_co_ci_u32_e32 v3, vcc_lo, s13, v1, vcc_lo
	s_load_dwordx2 s[6:7], s[4:5], 0x38
	v_add_co_u32 v4, vcc_lo, v2, s12
	v_add_co_ci_u32_e32 v5, vcc_lo, s13, v3, vcc_lo
	s_clause 0x1
	global_load_dwordx2 v[6:7], v[0:1], off
	global_load_dwordx2 v[2:3], v[2:3], off
	v_add_co_u32 v0, vcc_lo, v4, s0
	v_add_co_ci_u32_e32 v1, vcc_lo, s1, v5, vcc_lo
	global_load_dwordx2 v[4:5], v[4:5], off
	v_add_co_u32 v11, vcc_lo, v0, s12
	global_load_dwordx2 v[13:14], v[0:1], off
	v_add_co_ci_u32_e32 v12, vcc_lo, s13, v1, vcc_lo
	v_add_co_u32 v0, vcc_lo, v11, s12
	v_add_co_ci_u32_e32 v1, vcc_lo, s13, v12, vcc_lo
	global_load_dwordx2 v[11:12], v[11:12], off
	s_clause 0x1
	global_load_dwordx2 v[73:74], v[64:65], off offset:16
	global_load_dwordx2 v[75:76], v[9:10], off offset:232
	global_load_dwordx2 v[8:9], v[0:1], off
	s_load_dwordx4 s[8:11], s[2:3], 0x0
	v_cmp_gt_u16_e32 vcc_lo, 0x4d, v19
	s_waitcnt vmcnt(7)
	v_mul_f32_e32 v15, v7, v68
	s_waitcnt vmcnt(6)
	v_mul_f32_e32 v10, v2, v78
	v_mul_f32_e32 v17, v3, v78
	;; [unrolled: 1-line block ×3, first 2 shown]
	v_fmac_f32_e32 v15, v6, v67
	v_fma_f32 v18, v3, v77, -v10
	s_waitcnt vmcnt(5)
	v_mul_f32_e32 v3, v4, v72
	v_fmac_f32_e32 v17, v2, v77
	v_mul_f32_e32 v2, v5, v72
	s_waitcnt vmcnt(4)
	v_mul_f32_e32 v6, v14, v70
	v_fma_f32 v16, v7, v67, -v16
	v_fma_f32 v3, v5, v71, -v3
	v_mul_f32_e32 v5, v13, v70
	v_fmac_f32_e32 v2, v4, v71
	v_fmac_f32_e32 v6, v13, v69
	s_waitcnt vmcnt(2)
	v_mul_f32_e32 v4, v12, v74
	v_mul_f32_e32 v13, v11, v74
	ds_write_b64 v85, v[17:18] offset:4312
	s_waitcnt vmcnt(0)
	v_mul_f32_e32 v10, v9, v76
	v_mul_f32_e32 v17, v8, v76
	v_fma_f32 v7, v14, v69, -v5
	v_fmac_f32_e32 v4, v11, v73
	v_fma_f32 v5, v12, v73, -v13
	v_fmac_f32_e32 v10, v8, v75
	v_fma_f32 v11, v9, v75, -v17
	ds_write_b64 v85, v[2:3] offset:8624
	ds_write2_b64 v85, v[15:16], v[6:7] offset1:231
	ds_write_b64 v85, v[4:5] offset:6160
	ds_write_b64 v85, v[10:11] offset:10472
	s_and_saveexec_b32 s2, vcc_lo
	s_cbranch_execz .LBB0_3
; %bb.2:
	v_add_co_u32 v0, s0, v0, s0
	v_add_co_ci_u32_e64 v1, s0, s1, v1, s0
	v_add_co_u32 v2, s0, 0x800, v86
	v_add_co_ci_u32_e64 v3, s0, 0, v87, s0
	global_load_dwordx2 v[4:5], v[0:1], off
	global_load_dwordx2 v[2:3], v[2:3], off offset:1648
	v_add_co_u32 v0, s0, v0, s12
	v_add_co_ci_u32_e64 v1, s0, s13, v1, s0
	v_add_co_u32 v6, s0, 0x3000, v86
	v_add_co_ci_u32_e64 v7, s0, 0, v87, s0
	;; [unrolled: 2-line block ×3, first 2 shown]
	global_load_dwordx2 v[0:1], v[0:1], off
	s_clause 0x1
	global_load_dwordx2 v[10:11], v[64:65], off offset:1864
	global_load_dwordx2 v[6:7], v[6:7], off offset:32
	global_load_dwordx2 v[8:9], v[8:9], off
	s_waitcnt vmcnt(4)
	v_mul_f32_e32 v12, v5, v3
	v_mul_f32_e32 v13, v4, v3
	v_fmac_f32_e32 v12, v4, v2
	v_fma_f32 v13, v5, v2, -v13
	s_waitcnt vmcnt(2)
	v_mul_f32_e32 v3, v1, v11
	v_mul_f32_e32 v4, v0, v11
	s_waitcnt vmcnt(0)
	v_mul_f32_e32 v14, v9, v7
	v_mul_f32_e32 v7, v8, v7
	v_fmac_f32_e32 v3, v0, v10
	v_fma_f32 v4, v1, v10, -v4
	v_fmac_f32_e32 v14, v8, v6
	v_fma_f32 v15, v9, v6, -v7
	ds_write_b64 v85, v[12:13] offset:3696
	ds_write_b64 v85, v[3:4] offset:8008
	;; [unrolled: 1-line block ×3, first 2 shown]
.LBB0_3:
	s_or_b32 exec_lo, exec_lo, s2
	v_add_nc_u32_e32 v4, 0x1080, v85
	v_add_nc_u32_e32 v8, 0x2100, v85
	s_waitcnt lgkmcnt(0)
	s_barrier
	buffer_gl0_inv
	ds_read2_b64 v[0:3], v85 offset1:231
	ds_read2_b64 v[4:7], v4 offset0:11 offset1:242
	ds_read2_b64 v[8:11], v8 offset0:22 offset1:253
	s_load_dwordx2 s[2:3], s[4:5], 0x8
                                        ; implicit-def: $vgpr12
                                        ; implicit-def: $vgpr14
                                        ; implicit-def: $vgpr16
	s_and_saveexec_b32 s0, vcc_lo
	s_cbranch_execz .LBB0_5
; %bb.4:
	ds_read_b64 v[12:13], v85 offset:3696
	ds_read_b64 v[14:15], v85 offset:8008
	;; [unrolled: 1-line block ×3, first 2 shown]
.LBB0_5:
	s_or_b32 exec_lo, exec_lo, s0
	s_waitcnt lgkmcnt(0)
	v_add_f32_e32 v18, v4, v8
	v_add_f32_e32 v19, v0, v4
	v_sub_f32_e32 v21, v5, v9
	v_add_f32_e32 v24, v1, v5
	v_add_f32_e32 v5, v5, v9
	v_fma_f32 v0, -0.5, v18, v0
	v_add_f32_e32 v18, v19, v8
	v_sub_f32_e32 v4, v4, v8
	v_add_f32_e32 v19, v24, v9
	v_fma_f32 v1, -0.5, v5, v1
	v_fmamk_f32 v20, v21, 0x3f5db3d7, v0
	v_fmac_f32_e32 v0, 0xbf5db3d7, v21
	v_add_f32_e32 v21, v6, v10
	v_add_f32_e32 v5, v2, v6
	v_sub_f32_e32 v9, v7, v11
	v_add_nc_u32_e32 v22, 0xe7, v88
	v_sub_f32_e32 v6, v6, v10
	v_fma_f32 v2, -0.5, v21, v2
	v_fmamk_f32 v21, v4, 0xbf5db3d7, v1
	v_fmac_f32_e32 v1, 0x3f5db3d7, v4
	v_add_f32_e32 v4, v5, v10
	v_add_f32_e32 v5, v7, v11
	v_fmamk_f32 v8, v9, 0x3f5db3d7, v2
	v_add_f32_e32 v7, v3, v7
	v_fmac_f32_e32 v2, 0xbf5db3d7, v9
	v_add_f32_e32 v9, v14, v16
	v_fmac_f32_e32 v3, -0.5, v5
	v_sub_f32_e32 v10, v15, v17
	v_add_f32_e32 v5, v7, v11
	v_add_f32_e32 v7, v15, v17
	v_fma_f32 v48, -0.5, v9, v12
	v_add_co_u32 v23, null, 0x1ce, v88
	v_fmamk_f32 v9, v6, 0xbf5db3d7, v3
	v_fmac_f32_e32 v3, 0x3f5db3d7, v6
	v_fma_f32 v49, -0.5, v7, v13
	v_sub_f32_e32 v6, v14, v16
	v_fmamk_f32 v54, v10, 0x3f5db3d7, v48
	v_fmac_f32_e32 v48, 0xbf5db3d7, v10
	v_mul_lo_u16 v7, v88, 3
	v_mov_b32_e32 v10, 3
	v_mul_u32_u24_e32 v11, 3, v22
	v_fmamk_f32 v55, v6, 0xbf5db3d7, v49
	v_fmac_f32_e32 v49, 0x3f5db3d7, v6
	v_mul_u32_u24_e32 v89, 3, v23
	v_lshlrev_b32_sdwa v91, v10, v7 dst_sel:DWORD dst_unused:UNUSED_PAD src0_sel:DWORD src1_sel:WORD_0
	v_lshlrev_b32_e32 v90, 3, v11
	s_barrier
	buffer_gl0_inv
	ds_write2_b64 v91, v[18:19], v[20:21] offset1:1
	ds_write_b64 v91, v[0:1] offset:16
	ds_write2_b64 v90, v[4:5], v[8:9] offset1:1
	ds_write_b64 v90, v[2:3] offset:16
	s_and_saveexec_b32 s0, vcc_lo
	s_cbranch_execz .LBB0_7
; %bb.6:
	v_add_f32_e32 v0, v13, v15
	v_add_f32_e32 v2, v12, v14
	v_lshlrev_b32_e32 v3, 3, v89
	v_add_f32_e32 v1, v0, v17
	v_add_f32_e32 v0, v2, v16
	ds_write2_b64 v3, v[0:1], v[54:55] offset1:1
	ds_write_b64 v3, v[48:49] offset:16
.LBB0_7:
	s_or_b32 exec_lo, exec_lo, s0
	v_and_b32_e32 v12, 0xff, v88
	s_waitcnt lgkmcnt(0)
	s_barrier
	buffer_gl0_inv
	v_add_nc_u32_e32 v28, 0xe00, v85
	v_mul_lo_u16 v0, 0xab, v12
	v_mul_lo_u16 v12, 0x87, v12
	v_add_nc_u32_e32 v32, 0x1c80, v85
	v_mov_b32_e32 v29, 21
	v_cmp_gt_u16_e64 s0, 0x93, v88
	v_lshrrev_b16 v26, 9, v0
	v_lshrrev_b16 v12, 8, v12
                                        ; implicit-def: $vgpr79
	v_mul_lo_u16 v0, v26, 3
	v_sub_nc_u16 v13, v88, v12
	v_mul_u32_u24_sdwa v26, v26, v29 dst_sel:DWORD dst_unused:UNUSED_PAD src0_sel:WORD_0 src1_sel:DWORD
	v_sub_nc_u16 v0, v88, v0
	v_lshrrev_b16 v13, 1, v13
	v_and_b32_e32 v27, 0xff, v0
	v_and_b32_e32 v13, 0x7f, v13
	v_mul_u32_u24_e32 v0, 6, v27
	v_add_nc_u16 v12, v13, v12
	v_add_lshl_u32 v92, v26, v27, 3
	v_lshlrev_b32_e32 v0, 3, v0
	v_lshrrev_b16 v20, 4, v12
	s_clause 0x2
	global_load_dwordx4 v[8:11], v0, s[2:3]
	global_load_dwordx4 v[4:7], v0, s[2:3] offset:16
	global_load_dwordx4 v[0:3], v0, s[2:3] offset:32
	ds_read2_b64 v[12:15], v85 offset1:231
	ds_read2_b64 v[16:19], v28 offset0:14 offset1:245
	v_and_b32_e32 v38, 15, v20
	ds_read2_b64 v[20:23], v32 offset0:12 offset1:243
	ds_read_b64 v[24:25], v85 offset:11088
	s_waitcnt vmcnt(0) lgkmcnt(0)
	s_barrier
	buffer_gl0_inv
	v_mul_lo_u16 v30, v38, 21
	v_sub_nc_u16 v29, v88, v30
	v_and_b32_e32 v39, 0xff, v29
	v_mul_f32_e32 v26, v15, v9
	v_mul_f32_e32 v27, v14, v9
	;; [unrolled: 1-line block ×12, first 2 shown]
	v_fma_f32 v14, v14, v8, -v26
	v_fmac_f32_e32 v27, v15, v8
	v_fma_f32 v15, v16, v10, -v29
	v_fmac_f32_e32 v30, v17, v10
	v_fma_f32 v16, v18, v4, -v31
	v_fmac_f32_e32 v33, v19, v4
	v_fma_f32 v18, v24, v2, -v40
	v_fmac_f32_e32 v41, v25, v2
	v_fma_f32 v19, v22, v0, -v36
	v_fmac_f32_e32 v37, v23, v0
	v_fma_f32 v17, v20, v6, -v34
	v_fmac_f32_e32 v35, v21, v6
	v_add_f32_e32 v20, v14, v18
	v_add_f32_e32 v21, v27, v41
	;; [unrolled: 1-line block ×4, first 2 shown]
	v_sub_f32_e32 v14, v14, v18
	v_sub_f32_e32 v18, v27, v41
	;; [unrolled: 1-line block ×4, first 2 shown]
	v_add_f32_e32 v24, v16, v17
	v_add_f32_e32 v25, v33, v35
	v_sub_f32_e32 v16, v17, v16
	v_sub_f32_e32 v17, v35, v33
	v_add_f32_e32 v26, v22, v20
	v_add_f32_e32 v27, v23, v21
	v_sub_f32_e32 v29, v22, v20
	v_sub_f32_e32 v30, v23, v21
	;; [unrolled: 1-line block ×6, first 2 shown]
	v_add_f32_e32 v31, v16, v15
	v_add_f32_e32 v33, v17, v19
	v_sub_f32_e32 v34, v16, v15
	v_sub_f32_e32 v35, v17, v19
	;; [unrolled: 1-line block ×4, first 2 shown]
	v_add_f32_e32 v24, v24, v26
	v_add_f32_e32 v25, v25, v27
	v_sub_f32_e32 v16, v14, v16
	v_sub_f32_e32 v17, v18, v17
	v_add_f32_e32 v14, v31, v14
	v_add_f32_e32 v18, v33, v18
	v_mul_f32_e32 v20, 0x3f4a47b2, v20
	v_mul_f32_e32 v21, 0x3f4a47b2, v21
	;; [unrolled: 1-line block ×8, first 2 shown]
	v_add_f32_e32 v12, v12, v24
	v_add_f32_e32 v13, v13, v25
	v_fmamk_f32 v22, v22, 0x3d64c772, v20
	v_fmamk_f32 v23, v23, 0x3d64c772, v21
	v_fma_f32 v26, 0x3f3bfb3b, v29, -v26
	v_fma_f32 v27, 0x3f3bfb3b, v30, -v27
	v_fma_f32 v20, 0xbf3bfb3b, v29, -v20
	v_fma_f32 v21, 0xbf3bfb3b, v30, -v21
	v_fmamk_f32 v29, v16, 0x3eae86e6, v31
	v_fmamk_f32 v30, v17, 0x3eae86e6, v33
	v_fma_f32 v31, 0x3f5ff5aa, v15, -v31
	v_fma_f32 v33, 0x3f5ff5aa, v19, -v33
	;; [unrolled: 1-line block ×4, first 2 shown]
	v_fmamk_f32 v15, v24, 0xbf955555, v12
	v_fmamk_f32 v16, v25, 0xbf955555, v13
	v_fmac_f32_e32 v33, 0x3ee1c552, v18
	v_fmac_f32_e32 v34, 0x3ee1c552, v14
	;; [unrolled: 1-line block ×3, first 2 shown]
	v_add_f32_e32 v24, v22, v15
	v_add_f32_e32 v25, v23, v16
	;; [unrolled: 1-line block ×5, first 2 shown]
	v_fmac_f32_e32 v29, 0x3ee1c552, v14
	v_fmac_f32_e32 v30, 0x3ee1c552, v18
	;; [unrolled: 1-line block ×3, first 2 shown]
	v_add_f32_e32 v21, v27, v16
	v_add_f32_e32 v16, v35, v23
	v_sub_f32_e32 v17, v26, v34
	v_sub_f32_e32 v18, v22, v33
	v_add_f32_e32 v20, v33, v22
	v_sub_f32_e32 v22, v23, v35
	v_add_f32_e32 v23, v34, v26
	v_mad_u64_u32 v[26:27], null, v39, 48, s[2:3]
	v_add_f32_e32 v14, v30, v24
	v_sub_f32_e32 v15, v25, v29
	v_add_f32_e32 v19, v31, v21
	v_sub_f32_e32 v21, v21, v31
	v_sub_f32_e32 v24, v24, v30
	v_add_f32_e32 v25, v29, v25
	ds_write2_b64 v92, v[12:13], v[14:15] offset1:3
	ds_write2_b64 v92, v[16:17], v[18:19] offset0:6 offset1:9
	ds_write2_b64 v92, v[20:21], v[22:23] offset0:12 offset1:15
	ds_write_b64 v92, v[24:25] offset:144
	s_waitcnt lgkmcnt(0)
	s_barrier
	buffer_gl0_inv
	s_clause 0x2
	global_load_dwordx4 v[20:23], v[26:27], off offset:144
	global_load_dwordx4 v[16:19], v[26:27], off offset:160
	;; [unrolled: 1-line block ×3, first 2 shown]
	ds_read2_b64 v[24:27], v85 offset1:231
	ds_read2_b64 v[28:31], v28 offset0:14 offset1:245
	ds_read2_b64 v[32:35], v32 offset0:12 offset1:243
	ds_read_b64 v[36:37], v85 offset:11088
	v_mov_b32_e32 v40, 0x93
	s_waitcnt vmcnt(0) lgkmcnt(0)
	s_barrier
	buffer_gl0_inv
	v_mul_u32_u24_sdwa v38, v38, v40 dst_sel:DWORD dst_unused:UNUSED_PAD src0_sel:WORD_0 src1_sel:DWORD
	v_add_lshl_u32 v93, v38, v39, 3
	v_mul_f32_e32 v38, v27, v21
	v_mul_f32_e32 v39, v26, v21
	;; [unrolled: 1-line block ×12, first 2 shown]
	v_fma_f32 v26, v26, v20, -v38
	v_fmac_f32_e32 v39, v27, v20
	v_fma_f32 v27, v28, v22, -v40
	v_fmac_f32_e32 v41, v29, v22
	;; [unrolled: 2-line block ×6, first 2 shown]
	v_add_f32_e32 v32, v26, v30
	v_add_f32_e32 v33, v39, v51
	;; [unrolled: 1-line block ×4, first 2 shown]
	v_sub_f32_e32 v26, v26, v30
	v_sub_f32_e32 v30, v39, v51
	;; [unrolled: 1-line block ×4, first 2 shown]
	v_add_f32_e32 v36, v28, v29
	v_add_f32_e32 v37, v43, v45
	v_sub_f32_e32 v28, v29, v28
	v_sub_f32_e32 v29, v45, v43
	v_add_f32_e32 v38, v34, v32
	v_add_f32_e32 v39, v35, v33
	v_sub_f32_e32 v40, v34, v32
	v_sub_f32_e32 v41, v35, v33
	v_sub_f32_e32 v32, v32, v36
	v_sub_f32_e32 v33, v33, v37
	v_sub_f32_e32 v34, v36, v34
	v_sub_f32_e32 v35, v37, v35
	v_add_f32_e32 v42, v28, v27
	v_add_f32_e32 v43, v29, v31
	v_sub_f32_e32 v44, v28, v27
	v_sub_f32_e32 v45, v29, v31
	;; [unrolled: 1-line block ×4, first 2 shown]
	v_add_f32_e32 v36, v36, v38
	v_add_f32_e32 v37, v37, v39
	v_sub_f32_e32 v28, v26, v28
	v_sub_f32_e32 v29, v30, v29
	v_add_f32_e32 v26, v42, v26
	v_add_f32_e32 v30, v43, v30
	v_mul_f32_e32 v32, 0x3f4a47b2, v32
	v_mul_f32_e32 v33, 0x3f4a47b2, v33
	;; [unrolled: 1-line block ×8, first 2 shown]
	v_add_f32_e32 v44, v24, v36
	v_add_f32_e32 v45, v25, v37
	v_fmamk_f32 v24, v34, 0x3d64c772, v32
	v_fmamk_f32 v25, v35, 0x3d64c772, v33
	v_fma_f32 v34, 0x3f3bfb3b, v40, -v38
	v_fma_f32 v35, 0x3f3bfb3b, v41, -v39
	v_fma_f32 v32, 0xbf3bfb3b, v40, -v32
	v_fma_f32 v33, 0xbf3bfb3b, v41, -v33
	v_fmamk_f32 v38, v28, 0x3eae86e6, v42
	v_fmamk_f32 v39, v29, 0x3eae86e6, v43
	v_fma_f32 v27, 0x3f5ff5aa, v27, -v42
	v_fma_f32 v31, 0x3f5ff5aa, v31, -v43
	;; [unrolled: 1-line block ×4, first 2 shown]
	v_fmamk_f32 v36, v36, 0xbf955555, v44
	v_fmamk_f32 v37, v37, 0xbf955555, v45
	v_fmac_f32_e32 v38, 0x3ee1c552, v26
	v_fmac_f32_e32 v39, 0x3ee1c552, v30
	;; [unrolled: 1-line block ×6, first 2 shown]
	v_add_f32_e32 v24, v24, v36
	v_add_f32_e32 v25, v25, v37
	v_add_f32_e32 v26, v34, v36
	v_add_f32_e32 v30, v32, v36
	v_add_f32_e32 v32, v33, v37
	v_add_f32_e32 v33, v35, v37
	v_add_f32_e32 v46, v39, v24
	v_sub_f32_e32 v47, v25, v38
	v_add_f32_e32 v56, v29, v30
	v_sub_f32_e32 v57, v32, v28
	v_sub_f32_e32 v58, v26, v31
	v_add_f32_e32 v59, v27, v33
	v_add_f32_e32 v60, v31, v26
	v_sub_f32_e32 v61, v33, v27
	v_sub_f32_e32 v62, v30, v29
	v_add_f32_e32 v63, v28, v32
	v_sub_f32_e32 v52, v24, v39
	v_add_f32_e32 v53, v38, v25
	ds_write2_b64 v93, v[44:45], v[46:47] offset1:21
	ds_write2_b64 v93, v[56:57], v[58:59] offset0:42 offset1:63
	ds_write2_b64 v93, v[60:61], v[62:63] offset0:84 offset1:105
	ds_write_b64 v93, v[52:53] offset:1008
	s_waitcnt lgkmcnt(0)
	s_barrier
	buffer_gl0_inv
	s_and_saveexec_b32 s1, s0
	s_cbranch_execz .LBB0_9
; %bb.8:
	v_add_nc_u32_e32 v24, 0x800, v85
	v_add_nc_u32_e32 v25, 0x1000, v85
	;; [unrolled: 1-line block ×4, first 2 shown]
	ds_read2_b64 v[44:47], v85 offset1:147
	ds_read2_b64 v[56:59], v24 offset0:38 offset1:185
	ds_read2_b64 v[60:63], v25 offset0:76 offset1:223
	;; [unrolled: 1-line block ×4, first 2 shown]
	ds_read_b64 v[79:80], v85 offset:11760
.LBB0_9:
	s_or_b32 exec_lo, exec_lo, s1
	v_add_nc_u32_e32 v24, 0xffffff6d, v88
	v_cndmask_b32_e64 v24, v24, v88, s0
	v_mul_i32_i24_e32 v25, 0x50, v24
	v_mul_hi_i32_i24_e32 v24, 0x50, v24
	v_add_co_u32 v40, s1, s2, v25
	v_add_co_ci_u32_e64 v41, s1, s3, v24, s1
	s_clause 0x4
	global_load_dwordx4 v[36:39], v[40:41], off offset:1152
	global_load_dwordx4 v[32:35], v[40:41], off offset:1168
	;; [unrolled: 1-line block ×5, first 2 shown]
	s_waitcnt vmcnt(4) lgkmcnt(5)
	v_mul_f32_e32 v81, v47, v37
	v_mul_f32_e32 v103, v46, v37
	s_waitcnt lgkmcnt(4)
	v_mul_f32_e32 v82, v57, v39
	s_waitcnt vmcnt(2) lgkmcnt(2)
	v_mul_f32_e32 v108, v53, v27
	s_waitcnt vmcnt(0) lgkmcnt(0)
	v_mul_f32_e32 v112, v80, v43
	v_mul_f32_e32 v95, v79, v43
	;; [unrolled: 1-line block ×6, first 2 shown]
	v_fma_f32 v106, v46, v36, -v81
	v_fmac_f32_e32 v103, v47, v36
	v_fma_f32 v105, v56, v38, -v82
	v_fma_f32 v56, v52, v26, -v108
	;; [unrolled: 1-line block ×3, first 2 shown]
	v_fmac_f32_e32 v95, v80, v42
	v_mul_f32_e32 v83, v59, v33
	v_mul_f32_e32 v101, v58, v33
	;; [unrolled: 1-line block ×5, first 2 shown]
	v_fmac_f32_e32 v102, v57, v38
	v_fma_f32 v50, v50, v40, -v111
	v_fmac_f32_e32 v94, v51, v40
	v_sub_f32_e32 v46, v106, v52
	v_sub_f32_e32 v47, v103, v95
	v_mul_f32_e32 v84, v61, v35
	v_mul_f32_e32 v100, v60, v35
	v_mul_f32_e32 v107, v63, v25
	v_mul_f32_e32 v99, v62, v25
	v_mul_f32_e32 v97, v54, v29
	v_fma_f32 v104, v58, v32, -v83
	v_fmac_f32_e32 v101, v59, v32
	v_fmac_f32_e32 v98, v53, v26
	v_fma_f32 v54, v54, v28, -v109
	v_fma_f32 v53, v48, v30, -v110
	v_fmac_f32_e32 v96, v49, v30
	v_add_f32_e32 v112, v106, v52
	v_add_f32_e32 v113, v103, v95
	v_sub_f32_e32 v48, v105, v50
	v_sub_f32_e32 v49, v102, v94
	v_mul_f32_e32 v108, 0xbf0a6770, v47
	v_mul_f32_e32 v109, 0xbf0a6770, v46
	v_mul_f32_e32 v115, 0xbf68dda4, v47
	v_mul_f32_e32 v123, 0xbf68dda4, v46
	v_mul_f32_e32 v133, 0xbf7d64f0, v47
	v_mul_f32_e32 v139, 0xbf7d64f0, v46
	v_mul_f32_e32 v144, 0xbf4178ce, v47
	v_mul_f32_e32 v149, 0xbf4178ce, v46
	v_mul_f32_e32 v153, 0xbe903f40, v47
	v_mul_f32_e32 v159, 0xbe903f40, v46
	v_fma_f32 v58, v60, v34, -v84
	v_fmac_f32_e32 v100, v61, v34
	v_fma_f32 v57, v62, v24, -v107
	v_fmac_f32_e32 v99, v63, v24
	v_fmac_f32_e32 v97, v55, v28
	v_add_f32_e32 v117, v105, v50
	v_add_f32_e32 v118, v102, v94
	v_sub_f32_e32 v79, v104, v53
	v_sub_f32_e32 v80, v101, v96
	v_mul_f32_e32 v63, 0xbf68dda4, v49
	v_mul_f32_e32 v107, 0xbf68dda4, v48
	;; [unrolled: 1-line block ×10, first 2 shown]
	v_fmamk_f32 v46, v112, 0x3f575c64, v108
	v_fma_f32 v47, 0x3f575c64, v113, -v109
	v_fmamk_f32 v160, v112, 0x3ed4b147, v115
	v_fma_f32 v162, 0x3ed4b147, v113, -v123
	;; [unrolled: 2-line block ×5, first 2 shown]
	v_add_f32_e32 v124, v104, v53
	v_add_f32_e32 v125, v101, v96
	v_sub_f32_e32 v81, v58, v54
	v_sub_f32_e32 v82, v100, v97
	v_mul_f32_e32 v60, 0xbf7d64f0, v80
	v_mul_f32_e32 v62, 0xbf7d64f0, v79
	;; [unrolled: 1-line block ×10, first 2 shown]
	v_fmamk_f32 v48, v117, 0x3ed4b147, v63
	v_fma_f32 v49, 0x3ed4b147, v118, -v107
	v_fmamk_f32 v161, v117, 0xbf27a4f4, v114
	v_fma_f32 v163, 0xbf27a4f4, v118, -v122
	;; [unrolled: 2-line block ×5, first 2 shown]
	v_add_f32_e32 v46, v44, v46
	v_add_f32_e32 v47, v45, v47
	;; [unrolled: 1-line block ×12, first 2 shown]
	v_sub_f32_e32 v83, v99, v98
	v_sub_f32_e32 v84, v57, v56
	v_mul_f32_e32 v59, 0xbf4178ce, v82
	v_mul_f32_e32 v61, 0xbf4178ce, v81
	;; [unrolled: 1-line block ×10, first 2 shown]
	v_fmamk_f32 v79, v124, 0xbe11bafb, v60
	v_fma_f32 v80, 0xbe11bafb, v125, -v62
	v_fmamk_f32 v164, v124, 0xbf75a155, v116
	v_fma_f32 v165, 0xbf75a155, v125, -v120
	;; [unrolled: 2-line block ×5, first 2 shown]
	v_add_f32_e32 v46, v48, v46
	v_add_f32_e32 v47, v49, v47
	;; [unrolled: 1-line block ×12, first 2 shown]
	v_mul_f32_e32 v51, 0xbe903f40, v83
	v_mul_f32_e32 v55, 0xbe903f40, v84
	;; [unrolled: 1-line block ×10, first 2 shown]
	v_fmamk_f32 v81, v126, 0xbf27a4f4, v59
	v_fma_f32 v82, 0xbf27a4f4, v127, -v61
	v_fmamk_f32 v166, v126, 0xbe11bafb, v111
	v_fma_f32 v167, 0xbe11bafb, v127, -v121
	;; [unrolled: 2-line block ×5, first 2 shown]
	v_add_f32_e32 v46, v79, v46
	v_add_f32_e32 v47, v80, v47
	;; [unrolled: 1-line block ×10, first 2 shown]
	v_fmamk_f32 v83, v128, 0xbf75a155, v51
	v_fma_f32 v84, 0xbf75a155, v135, -v55
	v_fmamk_f32 v168, v128, 0x3f575c64, v110
	v_fma_f32 v169, 0x3f575c64, v135, -v119
	;; [unrolled: 2-line block ×5, first 2 shown]
	v_add_f32_e32 v46, v81, v46
	v_add_f32_e32 v47, v82, v47
	v_add_f32_e32 v48, v166, v48
	v_add_f32_e32 v49, v167, v49
	v_add_f32_e32 v81, v176, v79
	v_add_f32_e32 v82, v177, v80
	v_add_f32_e32 v160, v186, v160
	v_add_f32_e32 v161, v187, v161
	v_add_f32_e32 v162, v196, v162
	v_add_f32_e32 v163, v197, v163
	v_add_f32_e32 v79, v83, v46
	v_add_f32_e32 v80, v84, v47
	v_add_f32_e32 v46, v168, v48
	v_add_f32_e32 v47, v169, v49
	v_add_f32_e32 v48, v178, v81
	v_add_f32_e32 v49, v179, v82
	v_add_f32_e32 v83, v188, v160
	v_add_f32_e32 v84, v189, v161
	v_add_f32_e32 v81, v198, v162
	v_add_f32_e32 v82, v199, v163
	s_and_saveexec_b32 s1, s0
	s_cbranch_execz .LBB0_11
; %bb.10:
	v_mul_f32_e32 v161, 0x3f575c64, v113
	v_mul_f32_e32 v163, 0x3ed4b147, v113
	;; [unrolled: 1-line block ×10, first 2 shown]
	v_add_f32_e32 v113, v159, v113
	v_mul_f32_e32 v160, 0x3f575c64, v112
	v_mul_f32_e32 v162, 0x3ed4b147, v112
	;; [unrolled: 1-line block ×10, first 2 shown]
	v_add_f32_e32 v113, v45, v113
	v_add_f32_e32 v118, v158, v118
	v_mul_f32_e32 v168, 0x3ed4b147, v117
	v_mul_f32_e32 v170, 0xbf27a4f4, v117
	;; [unrolled: 1-line block ×5, first 2 shown]
	v_sub_f32_e32 v112, v112, v153
	v_mul_f32_e32 v185, 0xbf27a4f4, v127
	v_mul_f32_e32 v187, 0xbe11bafb, v127
	;; [unrolled: 1-line block ×5, first 2 shown]
	v_add_f32_e32 v113, v118, v113
	v_add_f32_e32 v118, v156, v125
	v_mul_f32_e32 v176, 0xbe11bafb, v124
	v_mul_f32_e32 v178, 0xbf75a155, v124
	;; [unrolled: 1-line block ×5, first 2 shown]
	v_add_f32_e32 v112, v44, v112
	v_sub_f32_e32 v117, v117, v151
	v_add_f32_e32 v113, v118, v113
	v_add_f32_e32 v118, v157, v127
	v_mul_f32_e32 v127, 0xbe11bafb, v135
	v_mul_f32_e32 v184, 0xbf27a4f4, v126
	;; [unrolled: 1-line block ×6, first 2 shown]
	v_add_f32_e32 v112, v117, v112
	v_sub_f32_e32 v117, v124, v154
	v_add_f32_e32 v113, v118, v113
	v_add_f32_e32 v118, v155, v127
	;; [unrolled: 1-line block ×3, first 2 shown]
	v_mul_f32_e32 v124, 0xbe11bafb, v128
	v_add_f32_e32 v112, v117, v112
	v_sub_f32_e32 v117, v126, v152
	v_add_f32_e32 v113, v118, v113
	v_sub_f32_e32 v118, v166, v144
	v_add_f32_e32 v126, v45, v127
	v_add_f32_e32 v127, v147, v175
	;; [unrolled: 1-line block ×5, first 2 shown]
	v_sub_f32_e32 v117, v124, v150
	v_add_f32_e32 v118, v44, v118
	v_sub_f32_e32 v124, v174, v143
	v_add_f32_e32 v126, v127, v126
	v_add_f32_e32 v127, v148, v183
	;; [unrolled: 1-line block ×6, first 2 shown]
	v_mul_f32_e32 v192, 0xbf75a155, v135
	v_mul_f32_e32 v193, 0x3f575c64, v135
	;; [unrolled: 1-line block ×4, first 2 shown]
	v_add_f32_e32 v118, v124, v118
	v_sub_f32_e32 v124, v182, v140
	v_add_f32_e32 v126, v127, v126
	v_add_f32_e32 v127, v145, v191
	;; [unrolled: 1-line block ×4, first 2 shown]
	v_mul_f32_e32 v159, 0xbf75a155, v128
	v_mul_f32_e32 v158, 0x3f575c64, v128
	;; [unrolled: 1-line block ×4, first 2 shown]
	v_add_f32_e32 v117, v45, v117
	v_add_f32_e32 v128, v137, v173
	;; [unrolled: 1-line block ×3, first 2 shown]
	v_sub_f32_e32 v124, v190, v141
	v_add_f32_e32 v126, v127, v126
	v_add_f32_e32 v127, v146, v135
	v_add_f32_e32 v100, v101, v100
	v_add_f32_e32 v58, v103, v58
	v_add_f32_e32 v117, v128, v117
	v_add_f32_e32 v128, v138, v181
	v_add_f32_e32 v124, v124, v118
	v_sub_f32_e32 v135, v153, v142
	v_add_f32_e32 v118, v127, v126
	v_sub_f32_e32 v126, v164, v133
	v_add_f32_e32 v123, v123, v163
	;; [unrolled: 2-line block ×4, first 2 shown]
	v_add_f32_e32 v57, v58, v57
	v_add_f32_e32 v127, v128, v117
	;; [unrolled: 1-line block ×10, first 2 shown]
	v_sub_f32_e32 v63, v168, v63
	v_add_f32_e32 v58, v62, v177
	v_add_f32_e32 v62, v99, v98
	;; [unrolled: 1-line block ×3, first 2 shown]
	v_sub_f32_e32 v126, v172, v131
	v_add_f32_e32 v127, v128, v127
	v_add_f32_e32 v128, v122, v171
	v_sub_f32_e32 v114, v170, v114
	v_add_f32_e32 v45, v101, v45
	v_add_f32_e32 v44, v63, v44
	;; [unrolled: 3-line block ×3, first 2 shown]
	v_add_f32_e32 v125, v134, v125
	v_add_f32_e32 v124, v126, v124
	v_sub_f32_e32 v126, v180, v132
	v_add_f32_e32 v123, v128, v123
	v_add_f32_e32 v120, v120, v179
	v_add_f32_e32 v114, v114, v115
	v_sub_f32_e32 v115, v178, v116
	v_add_f32_e32 v45, v58, v45
	;; [unrolled: 4-line block ×3, first 2 shown]
	v_add_f32_e32 v53, v54, v53
	v_add_f32_e32 v122, v125, v127
	v_add_f32_e32 v124, v126, v124
	v_sub_f32_e32 v125, v188, v129
	v_add_f32_e32 v120, v120, v123
	v_add_f32_e32 v121, v121, v187
	v_add_f32_e32 v114, v115, v114
	v_sub_f32_e32 v111, v186, v111
	;; [unrolled: 4-line block ×5, first 2 shown]
	v_add_f32_e32 v45, v54, v45
	v_add_f32_e32 v44, v51, v44
	;; [unrolled: 1-line block ×7, first 2 shown]
	v_add_nc_u32_e32 v52, 0x800, v85
	v_add_nc_u32_e32 v53, 0x1000, v85
	;; [unrolled: 1-line block ×4, first 2 shown]
	ds_write2_b64 v85, v[50:51], v[44:45] offset1:147
	ds_write2_b64 v52, v[101:102], v[121:122] offset0:38 offset1:185
	ds_write2_b64 v53, v[117:118], v[112:113] offset0:76 offset1:223
	;; [unrolled: 1-line block ×4, first 2 shown]
	ds_write_b64 v85, v[79:80] offset:11760
.LBB0_11:
	s_or_b32 exec_lo, exec_lo, s1
	v_add_co_u32 v62, s1, 0x3000, v86
	v_add_co_ci_u32_e64 v63, s1, 0, v87, s1
	s_waitcnt lgkmcnt(0)
	s_barrier
	buffer_gl0_inv
	global_load_dwordx2 v[54:55], v[62:63], off offset:648
	v_add_co_u32 v44, s1, 0x3288, v86
	v_add_co_ci_u32_e64 v45, s1, 0, v87, s1
	v_add_co_u32 v50, s1, 0x5000, v86
	v_add_co_ci_u32_e64 v51, s1, 0, v87, s1
	;; [unrolled: 2-line block ×4, first 2 shown]
	s_clause 0x3
	global_load_dwordx2 v[59:60], v[50:51], off offset:1080
	global_load_dwordx2 v[102:103], v[52:53], off offset:664
	;; [unrolled: 1-line block ×4, first 2 shown]
	v_add_co_u32 v50, s1, 0x5800, v86
	v_add_co_ci_u32_e64 v51, s1, 0, v87, s1
	global_load_dwordx2 v[106:107], v[50:51], off offset:880
	ds_read2_b64 v[50:53], v85 offset1:231
	s_waitcnt vmcnt(5) lgkmcnt(0)
	v_mul_f32_e32 v58, v51, v55
	v_mul_f32_e32 v95, v50, v55
	v_fma_f32 v94, v50, v54, -v58
	v_fmac_f32_e32 v95, v51, v54
	v_add_nc_u32_e32 v54, 0x1080, v85
	v_add_nc_u32_e32 v58, 0x2100, v85
	ds_write_b64 v85, v[94:95]
	ds_read2_b64 v[94:97], v54 offset0:11 offset1:242
	ds_read2_b64 v[98:101], v58 offset0:22 offset1:253
	s_waitcnt vmcnt(2)
	v_mul_f32_e32 v50, v53, v105
	v_mul_f32_e32 v51, v52, v105
	v_fma_f32 v50, v52, v104, -v50
	v_fmac_f32_e32 v51, v53, v104
	s_waitcnt vmcnt(1) lgkmcnt(1)
	v_mul_f32_e32 v52, v95, v57
	v_mul_f32_e32 v53, v94, v57
	s_waitcnt lgkmcnt(0)
	v_mul_f32_e32 v55, v99, v60
	v_mul_f32_e32 v57, v98, v60
	;; [unrolled: 1-line block ×4, first 2 shown]
	s_waitcnt vmcnt(0)
	v_mul_f32_e32 v104, v101, v107
	v_mul_f32_e32 v103, v100, v107
	v_fma_f32 v52, v94, v56, -v52
	v_fmac_f32_e32 v53, v95, v56
	v_fma_f32 v56, v98, v59, -v55
	v_fmac_f32_e32 v57, v99, v59
	v_fma_f32 v59, v96, v102, -v61
	v_fmac_f32_e32 v60, v97, v102
	v_fma_f32 v102, v100, v106, -v104
	v_fmac_f32_e32 v103, v101, v106
	ds_write_b64 v85, v[50:51] offset:1848
	ds_write2_b64 v54, v[52:53], v[59:60] offset0:11 offset1:242
	ds_write2_b64 v58, v[56:57], v[102:103] offset0:22 offset1:253
	s_and_saveexec_b32 s2, vcc_lo
	s_cbranch_execz .LBB0_13
; %bb.12:
	v_add_co_u32 v50, s1, 0x800, v44
	v_add_co_ci_u32_e64 v51, s1, 0, v45, s1
	v_add_co_u32 v52, s1, 0x1800, v44
	v_add_co_ci_u32_e64 v53, s1, 0, v45, s1
	;; [unrolled: 2-line block ×3, first 2 shown]
	s_clause 0x2
	global_load_dwordx2 v[50:51], v[50:51], off offset:1648
	global_load_dwordx2 v[52:53], v[52:53], off offset:1864
	;; [unrolled: 1-line block ×3, first 2 shown]
	ds_read_b64 v[55:56], v85 offset:3696
	ds_read_b64 v[59:60], v85 offset:8008
	;; [unrolled: 1-line block ×3, first 2 shown]
	s_waitcnt vmcnt(2) lgkmcnt(2)
	v_mul_f32_e32 v57, v56, v51
	v_mul_f32_e32 v97, v55, v51
	s_waitcnt vmcnt(1) lgkmcnt(1)
	v_mul_f32_e32 v61, v60, v53
	v_mul_f32_e32 v51, v59, v53
	;; [unrolled: 3-line block ×3, first 2 shown]
	v_fma_f32 v96, v55, v50, -v57
	v_fmac_f32_e32 v97, v56, v50
	v_fma_f32 v50, v59, v52, -v61
	v_fmac_f32_e32 v51, v60, v52
	;; [unrolled: 2-line block ×3, first 2 shown]
	ds_write_b64 v85, v[96:97] offset:3696
	ds_write_b64 v85, v[50:51] offset:8008
	;; [unrolled: 1-line block ×3, first 2 shown]
.LBB0_13:
	s_or_b32 exec_lo, exec_lo, s2
	s_waitcnt lgkmcnt(0)
	s_barrier
	buffer_gl0_inv
	ds_read2_b64 v[50:53], v85 offset1:231
	ds_read2_b64 v[54:57], v54 offset0:11 offset1:242
	ds_read2_b64 v[58:61], v58 offset0:22 offset1:253
	s_and_saveexec_b32 s1, vcc_lo
	s_cbranch_execz .LBB0_15
; %bb.14:
	ds_read_b64 v[81:82], v85 offset:3696
	ds_read_b64 v[83:84], v85 offset:8008
	ds_read_b64 v[48:49], v85 offset:12320
.LBB0_15:
	s_or_b32 exec_lo, exec_lo, s1
	s_waitcnt lgkmcnt(0)
	v_add_f32_e32 v44, v54, v58
	v_add_f32_e32 v45, v50, v54
	v_sub_f32_e32 v97, v55, v59
	v_add_f32_e32 v95, v55, v59
	v_fma_f32 v94, -0.5, v44, v50
	v_add_f32_e32 v44, v51, v55
	v_add_f32_e32 v50, v56, v60
	;; [unrolled: 1-line block ×3, first 2 shown]
	v_fma_f32 v95, -0.5, v95, v51
	v_fmamk_f32 v98, v97, 0xbf5db3d7, v94
	v_fmac_f32_e32 v94, 0x3f5db3d7, v97
	v_sub_f32_e32 v45, v54, v58
	v_add_f32_e32 v97, v44, v59
	v_add_f32_e32 v44, v52, v56
	v_fma_f32 v52, -0.5, v50, v52
	v_sub_f32_e32 v50, v57, v61
	v_fmamk_f32 v99, v45, 0x3f5db3d7, v95
	v_fmac_f32_e32 v95, 0xbf5db3d7, v45
	v_add_f32_e32 v54, v44, v60
	v_add_f32_e32 v44, v53, v57
	v_fmamk_f32 v58, v50, 0xbf5db3d7, v52
	v_add_f32_e32 v45, v57, v61
	v_fmac_f32_e32 v52, 0x3f5db3d7, v50
	v_add_f32_e32 v50, v83, v48
	v_add_f32_e32 v51, v84, v49
	;; [unrolled: 1-line block ×3, first 2 shown]
	v_fmac_f32_e32 v53, -0.5, v45
	v_sub_f32_e32 v56, v56, v60
	v_fma_f32 v44, -0.5, v50, v81
	v_sub_f32_e32 v57, v84, v49
	v_fma_f32 v45, -0.5, v51, v82
	v_sub_f32_e32 v60, v83, v48
	v_fmamk_f32 v59, v56, 0x3f5db3d7, v53
	v_fmac_f32_e32 v53, 0xbf5db3d7, v56
	v_fmamk_f32 v50, v57, 0xbf5db3d7, v44
	v_fmac_f32_e32 v44, 0x3f5db3d7, v57
	;; [unrolled: 2-line block ×3, first 2 shown]
	s_barrier
	buffer_gl0_inv
	ds_write2_b64 v91, v[96:97], v[98:99] offset1:1
	ds_write_b64 v91, v[94:95] offset:16
	ds_write2_b64 v90, v[54:55], v[58:59] offset1:1
	ds_write_b64 v90, v[52:53] offset:16
	s_and_saveexec_b32 s1, vcc_lo
	s_cbranch_execz .LBB0_17
; %bb.16:
	v_add_f32_e32 v52, v82, v84
	v_add_f32_e32 v53, v81, v83
	v_lshlrev_b32_e32 v54, 3, v89
	v_add_f32_e32 v49, v52, v49
	v_add_f32_e32 v48, v53, v48
	ds_write2_b64 v54, v[48:49], v[50:51] offset1:1
	ds_write_b64 v54, v[44:45] offset:16
.LBB0_17:
	s_or_b32 exec_lo, exec_lo, s1
	s_waitcnt lgkmcnt(0)
	s_barrier
	buffer_gl0_inv
	ds_read2_b64 v[52:55], v85 offset1:231
	v_add_nc_u32_e32 v60, 0xe00, v85
	v_add_nc_u32_e32 v61, 0x1c80, v85
	ds_read_b64 v[48:49], v85 offset:11088
	ds_read2_b64 v[56:59], v60 offset0:14 offset1:245
	ds_read2_b64 v[81:84], v61 offset0:12 offset1:243
	s_waitcnt lgkmcnt(0)
	s_barrier
	buffer_gl0_inv
	v_mul_f32_e32 v89, v9, v55
	v_mul_f32_e32 v9, v9, v54
	;; [unrolled: 1-line block ×4, first 2 shown]
	v_fmac_f32_e32 v89, v8, v54
	v_fma_f32 v8, v8, v55, -v9
	v_mul_f32_e32 v9, v11, v57
	v_mul_f32_e32 v11, v11, v56
	;; [unrolled: 1-line block ×8, first 2 shown]
	v_fmac_f32_e32 v90, v2, v48
	v_fma_f32 v2, v2, v49, -v3
	v_fmac_f32_e32 v9, v10, v56
	v_fma_f32 v3, v10, v57, -v11
	;; [unrolled: 2-line block ×5, first 2 shown]
	v_add_f32_e32 v1, v89, v90
	v_add_f32_e32 v6, v8, v2
	v_sub_f32_e32 v2, v8, v2
	v_add_f32_e32 v8, v9, v91
	v_add_f32_e32 v10, v3, v0
	v_sub_f32_e32 v9, v9, v91
	v_sub_f32_e32 v0, v3, v0
	v_add_f32_e32 v3, v54, v55
	v_add_f32_e32 v11, v4, v5
	v_sub_f32_e32 v48, v55, v54
	;; [unrolled: 4-line block ×3, first 2 shown]
	v_sub_f32_e32 v54, v8, v1
	v_sub_f32_e32 v55, v10, v6
	;; [unrolled: 1-line block ×6, first 2 shown]
	v_add_f32_e32 v1, v48, v9
	v_add_f32_e32 v57, v4, v0
	v_sub_f32_e32 v58, v48, v9
	v_sub_f32_e32 v59, v4, v0
	v_add_f32_e32 v3, v3, v5
	v_add_f32_e32 v5, v11, v49
	v_sub_f32_e32 v9, v9, v7
	v_sub_f32_e32 v11, v0, v2
	;; [unrolled: 1-line block ×4, first 2 shown]
	v_add_f32_e32 v7, v1, v7
	v_add_f32_e32 v2, v57, v2
	;; [unrolled: 1-line block ×4, first 2 shown]
	v_mul_f32_e32 v49, 0x3f4a47b2, v56
	v_mul_f32_e32 v6, 0x3f4a47b2, v6
	;; [unrolled: 1-line block ×8, first 2 shown]
	v_fmamk_f32 v3, v3, 0xbf955555, v0
	v_fmamk_f32 v5, v5, 0xbf955555, v1
	;; [unrolled: 1-line block ×4, first 2 shown]
	v_fma_f32 v52, 0x3f3bfb3b, v54, -v52
	v_fma_f32 v53, 0x3f3bfb3b, v55, -v53
	;; [unrolled: 1-line block ×4, first 2 shown]
	v_fmamk_f32 v54, v48, 0xbeae86e6, v56
	v_fmamk_f32 v55, v4, 0xbeae86e6, v57
	v_fma_f32 v9, 0xbf5ff5aa, v9, -v56
	v_fma_f32 v11, 0xbf5ff5aa, v11, -v57
	;; [unrolled: 1-line block ×4, first 2 shown]
	v_add_f32_e32 v57, v8, v3
	v_add_f32_e32 v58, v10, v5
	v_fmac_f32_e32 v54, 0xbee1c552, v7
	v_fmac_f32_e32 v55, 0xbee1c552, v2
	v_add_f32_e32 v8, v52, v3
	v_add_f32_e32 v10, v53, v5
	;; [unrolled: 1-line block ×4, first 2 shown]
	v_fmac_f32_e32 v9, 0xbee1c552, v7
	v_fmac_f32_e32 v56, 0xbee1c552, v2
	;; [unrolled: 1-line block ×4, first 2 shown]
	v_add_f32_e32 v2, v55, v57
	v_sub_f32_e32 v3, v58, v54
	v_add_f32_e32 v4, v56, v49
	v_sub_f32_e32 v5, v52, v48
	v_sub_f32_e32 v6, v8, v11
	v_add_f32_e32 v7, v9, v10
	v_add_f32_e32 v8, v11, v8
	v_sub_f32_e32 v9, v10, v9
	v_sub_f32_e32 v10, v49, v56
	v_add_f32_e32 v11, v48, v52
	v_sub_f32_e32 v48, v57, v55
	v_add_f32_e32 v49, v54, v58
	ds_write2_b64 v92, v[0:1], v[2:3] offset1:3
	ds_write2_b64 v92, v[4:5], v[6:7] offset0:6 offset1:9
	ds_write2_b64 v92, v[8:9], v[10:11] offset0:12 offset1:15
	ds_write_b64 v92, v[48:49] offset:144
	s_waitcnt lgkmcnt(0)
	s_barrier
	buffer_gl0_inv
	ds_read2_b64 v[0:3], v85 offset1:231
	ds_read2_b64 v[4:7], v60 offset0:14 offset1:245
	ds_read2_b64 v[8:11], v61 offset0:12 offset1:243
	ds_read_b64 v[48:49], v85 offset:11088
	s_waitcnt lgkmcnt(0)
	s_barrier
	buffer_gl0_inv
	v_mul_f32_e32 v52, v21, v3
	v_mul_f32_e32 v21, v21, v2
	v_fmac_f32_e32 v52, v20, v2
	v_fma_f32 v2, v20, v3, -v21
	v_mul_f32_e32 v3, v23, v5
	v_mul_f32_e32 v20, v23, v4
	;; [unrolled: 1-line block ×5, first 2 shown]
	v_fmac_f32_e32 v3, v22, v4
	v_fma_f32 v4, v22, v5, -v20
	v_fmac_f32_e32 v21, v16, v6
	v_fma_f32 v5, v16, v7, -v17
	v_fmac_f32_e32 v23, v18, v8
	v_mul_f32_e32 v6, v15, v49
	v_mul_f32_e32 v7, v15, v48
	;; [unrolled: 1-line block ×5, first 2 shown]
	v_fmac_f32_e32 v6, v14, v48
	v_fma_f32 v7, v14, v49, -v7
	v_fma_f32 v8, v18, v9, -v8
	v_fmac_f32_e32 v15, v12, v10
	v_fma_f32 v9, v12, v11, -v13
	v_add_f32_e32 v10, v52, v6
	v_add_f32_e32 v11, v2, v7
	v_sub_f32_e32 v2, v2, v7
	v_add_f32_e32 v7, v3, v15
	v_add_f32_e32 v12, v4, v9
	v_sub_f32_e32 v6, v52, v6
	v_sub_f32_e32 v3, v3, v15
	;; [unrolled: 1-line block ×3, first 2 shown]
	v_add_f32_e32 v9, v21, v23
	v_add_f32_e32 v13, v5, v8
	v_sub_f32_e32 v14, v23, v21
	v_sub_f32_e32 v5, v8, v5
	v_add_f32_e32 v8, v7, v10
	v_add_f32_e32 v15, v12, v11
	v_sub_f32_e32 v16, v7, v10
	v_sub_f32_e32 v17, v12, v11
	;; [unrolled: 1-line block ×6, first 2 shown]
	v_add_f32_e32 v18, v14, v3
	v_add_f32_e32 v19, v5, v4
	v_sub_f32_e32 v20, v14, v3
	v_sub_f32_e32 v21, v5, v4
	;; [unrolled: 1-line block ×3, first 2 shown]
	v_add_f32_e32 v8, v9, v8
	v_add_f32_e32 v9, v13, v15
	v_sub_f32_e32 v4, v4, v2
	v_sub_f32_e32 v14, v6, v14
	;; [unrolled: 1-line block ×3, first 2 shown]
	v_add_f32_e32 v6, v18, v6
	v_add_f32_e32 v2, v19, v2
	;; [unrolled: 1-line block ×4, first 2 shown]
	v_mul_f32_e32 v10, 0x3f4a47b2, v10
	v_mul_f32_e32 v11, 0x3f4a47b2, v11
	;; [unrolled: 1-line block ×8, first 2 shown]
	v_fmamk_f32 v8, v8, 0xbf955555, v0
	v_fmamk_f32 v9, v9, 0xbf955555, v1
	;; [unrolled: 1-line block ×4, first 2 shown]
	v_fma_f32 v13, 0x3f3bfb3b, v16, -v13
	v_fma_f32 v15, 0x3f3bfb3b, v17, -v15
	;; [unrolled: 1-line block ×4, first 2 shown]
	v_fmamk_f32 v16, v14, 0xbeae86e6, v18
	v_fmamk_f32 v17, v5, 0xbeae86e6, v19
	v_fma_f32 v18, 0xbf5ff5aa, v3, -v18
	v_fma_f32 v4, 0xbf5ff5aa, v4, -v19
	;; [unrolled: 1-line block ×4, first 2 shown]
	v_add_f32_e32 v20, v7, v8
	v_add_f32_e32 v12, v12, v9
	;; [unrolled: 1-line block ×6, first 2 shown]
	v_fmac_f32_e32 v16, 0xbee1c552, v6
	v_fmac_f32_e32 v17, 0xbee1c552, v2
	;; [unrolled: 1-line block ×6, first 2 shown]
	v_add_f32_e32 v2, v17, v20
	v_sub_f32_e32 v3, v12, v16
	v_add_f32_e32 v8, v19, v13
	v_sub_f32_e32 v9, v15, v14
	v_sub_f32_e32 v10, v5, v4
	v_add_f32_e32 v11, v18, v7
	v_add_f32_e32 v4, v4, v5
	v_sub_f32_e32 v5, v7, v18
	v_sub_f32_e32 v6, v13, v19
	v_add_f32_e32 v7, v14, v15
	v_sub_f32_e32 v48, v20, v17
	v_add_f32_e32 v49, v16, v12
	ds_write2_b64 v93, v[0:1], v[2:3] offset1:21
	ds_write2_b64 v93, v[8:9], v[10:11] offset0:42 offset1:63
	ds_write2_b64 v93, v[4:5], v[6:7] offset0:84 offset1:105
	ds_write_b64 v93, v[48:49] offset:1008
	s_waitcnt lgkmcnt(0)
	s_barrier
	buffer_gl0_inv
	s_and_saveexec_b32 s1, s0
	s_cbranch_execz .LBB0_19
; %bb.18:
	v_add_nc_u32_e32 v4, 0x800, v85
	v_add_nc_u32_e32 v5, 0x1000, v85
	v_add_nc_u32_e32 v12, 0x1a00, v85
	v_add_nc_u32_e32 v13, 0x2400, v85
	ds_read2_b64 v[0:3], v85 offset1:147
	ds_read2_b64 v[8:11], v4 offset0:38 offset1:185
	ds_read2_b64 v[4:7], v5 offset0:76 offset1:223
	ds_read2_b64 v[48:51], v12 offset0:50 offset1:197
	ds_read2_b64 v[44:47], v13 offset0:24 offset1:171
	ds_read_b64 v[79:80], v85 offset:11760
.LBB0_19:
	s_or_b32 exec_lo, exec_lo, s1
	s_and_saveexec_b32 s1, s0
	s_cbranch_execz .LBB0_21
; %bb.20:
	s_waitcnt lgkmcnt(0)
	v_mul_f32_e32 v12, v43, v79
	v_mul_f32_e32 v13, v37, v2
	;; [unrolled: 1-line block ×5, first 2 shown]
	v_fma_f32 v16, v42, v80, -v12
	v_fma_f32 v12, v36, v3, -v13
	v_mul_f32_e32 v3, v41, v46
	v_mul_f32_e32 v13, v39, v8
	v_fmac_f32_e32 v14, v36, v2
	v_fmac_f32_e32 v15, v42, v79
	v_add_f32_e32 v17, v16, v12
	v_fma_f32 v18, v40, v47, -v3
	v_fma_f32 v13, v38, v9, -v13
	v_mul_f32_e32 v20, v41, v47
	v_sub_f32_e32 v22, v14, v15
	v_mul_f32_e32 v21, 0xbf75a155, v17
	v_fmac_f32_e32 v19, v38, v8
	v_add_f32_e32 v9, v18, v13
	v_fmac_f32_e32 v20, v40, v46
	v_mul_f32_e32 v8, v31, v44
	v_mul_f32_e32 v36, v33, v10
	v_fmamk_f32 v3, v22, 0x3e903f40, v21
	v_mul_f32_e32 v23, 0x3f575c64, v9
	v_sub_f32_e32 v2, v19, v20
	v_fma_f32 v38, v30, v45, -v8
	v_fma_f32 v36, v32, v11, -v36
	v_mul_f32_e32 v11, v33, v11
	v_mul_f32_e32 v31, v31, v45
	;; [unrolled: 1-line block ×4, first 2 shown]
	v_add_f32_e32 v3, v1, v3
	v_fmamk_f32 v37, v2, 0xbf0a6770, v23
	v_add_f32_e32 v39, v38, v36
	v_fmac_f32_e32 v11, v32, v10
	v_fmac_f32_e32 v31, v30, v44
	v_fma_f32 v30, v28, v51, -v8
	v_fma_f32 v32, v34, v5, -v33
	v_mul_f32_e32 v33, v35, v5
	v_mul_f32_e32 v29, v29, v51
	;; [unrolled: 1-line block ×4, first 2 shown]
	v_sub_f32_e32 v42, v12, v16
	v_mul_f32_e32 v35, 0xbf27a4f4, v39
	v_sub_f32_e32 v40, v11, v31
	v_add_f32_e32 v41, v30, v32
	v_fmac_f32_e32 v33, v34, v4
	v_fmac_f32_e32 v29, v28, v50
	v_add_f32_e32 v3, v37, v3
	v_fma_f32 v37, v26, v49, -v5
	v_fma_f32 v43, v24, v7, -v8
	v_mul_f32_e32 v25, v25, v7
	v_mul_f32_e32 v27, v27, v49
	v_add_f32_e32 v44, v15, v14
	v_mul_f32_e32 v45, 0xbe903f40, v42
	v_sub_f32_e32 v47, v13, v18
	v_fmamk_f32 v4, v40, 0x3f4178ce, v35
	v_mul_f32_e32 v28, 0x3ed4b147, v41
	v_sub_f32_e32 v34, v33, v29
	v_add_f32_e32 v46, v37, v43
	v_fmac_f32_e32 v25, v24, v6
	v_fmac_f32_e32 v27, v26, v48
	v_fmamk_f32 v5, v44, 0xbf75a155, v45
	v_add_f32_e32 v24, v20, v19
	v_mul_f32_e32 v26, 0x3f0a6770, v47
	v_sub_f32_e32 v49, v36, v38
	v_add_f32_e32 v3, v4, v3
	v_fmamk_f32 v4, v34, 0xbf68dda4, v28
	v_mul_f32_e32 v48, 0xbe11bafb, v46
	v_sub_f32_e32 v50, v25, v27
	v_add_f32_e32 v5, v0, v5
	v_fmamk_f32 v6, v24, 0x3f575c64, v26
	v_add_f32_e32 v51, v31, v11
	v_mul_f32_e32 v52, 0xbf4178ce, v49
	v_add_f32_e32 v3, v4, v3
	v_fmamk_f32 v4, v50, 0x3f7d64f0, v48
	v_add_f32_e32 v5, v6, v5
	v_mul_f32_e32 v53, 0xbf27a4f4, v17
	v_fmamk_f32 v6, v51, 0xbf27a4f4, v52
	v_sub_f32_e32 v54, v32, v30
	v_add_f32_e32 v4, v4, v3
	v_mul_f32_e32 v55, 0xbe11bafb, v9
	v_add_f32_e32 v56, v29, v33
	v_add_f32_e32 v3, v6, v5
	v_fmamk_f32 v5, v22, 0x3f4178ce, v53
	v_mul_f32_e32 v57, 0x3f68dda4, v54
	v_sub_f32_e32 v58, v43, v37
	v_fmamk_f32 v6, v2, 0xbf7d64f0, v55
	v_mul_f32_e32 v59, 0x3f575c64, v39
	v_add_f32_e32 v5, v1, v5
	v_fmamk_f32 v7, v56, 0x3ed4b147, v57
	v_add_f32_e32 v60, v27, v25
	v_mul_f32_e32 v61, 0xbf7d64f0, v58
	v_mul_f32_e32 v79, 0xbf75a155, v41
	v_add_f32_e32 v5, v6, v5
	v_fmamk_f32 v6, v40, 0x3f0a6770, v59
	v_add_f32_e32 v3, v7, v3
	v_fmamk_f32 v7, v60, 0xbe11bafb, v61
	v_mul_f32_e32 v80, 0xbf4178ce, v42
	v_mul_f32_e32 v81, 0x3ed4b147, v46
	v_add_f32_e32 v5, v6, v5
	v_fmamk_f32 v6, v34, 0x3e903f40, v79
	v_add_f32_e32 v3, v7, v3
	v_fmamk_f32 v7, v44, 0xbf27a4f4, v80
	;; [unrolled: 6-line block ×4, first 2 shown]
	v_mul_f32_e32 v90, 0xbe903f40, v54
	v_fmamk_f32 v10, v2, 0xbe903f40, v89
	v_add_f32_e32 v5, v1, v5
	v_mul_f32_e32 v91, 0x3ed4b147, v39
	v_add_f32_e32 v7, v8, v7
	v_fmamk_f32 v8, v56, 0xbf75a155, v90
	v_mul_f32_e32 v92, 0x3f68dda4, v58
	v_add_f32_e32 v5, v10, v5
	v_fmamk_f32 v10, v40, 0xbf68dda4, v91
	;; [unrolled: 3-line block ×3, first 2 shown]
	v_mul_f32_e32 v93, 0x3f575c64, v41
	v_add_f32_e32 v10, v10, v5
	v_mul_f32_e32 v97, 0x3e903f40, v47
	v_mul_f32_e32 v96, 0xbf27a4f4, v46
	v_add_f32_e32 v5, v8, v7
	v_fmamk_f32 v7, v44, 0xbe11bafb, v94
	v_fmamk_f32 v95, v34, 0x3f0a6770, v93
	;; [unrolled: 1-line block ×3, first 2 shown]
	v_mul_f32_e32 v99, 0x3f68dda4, v49
	v_mul_f32_e32 v101, 0xbf0a6770, v54
	v_add_f32_e32 v7, v0, v7
	v_add_f32_e32 v8, v95, v10
	v_fmamk_f32 v10, v50, 0x3f4178ce, v96
	v_mul_f32_e32 v95, 0x3ed4b147, v17
	v_mul_f32_e32 v100, 0xbf27a4f4, v9
	v_add_f32_e32 v7, v98, v7
	v_fmamk_f32 v98, v51, 0x3ed4b147, v99
	v_add_f32_e32 v8, v10, v8
	v_fmamk_f32 v10, v22, 0x3f68dda4, v95
	v_mul_f32_e32 v104, 0xbf4178ce, v58
	v_fmamk_f32 v102, v2, 0x3f4178ce, v100
	v_add_f32_e32 v7, v98, v7
	v_fmamk_f32 v98, v56, 0x3f575c64, v101
	v_add_f32_e32 v10, v1, v10
	v_mul_f32_e32 v103, 0xbf75a155, v39
	v_mul_f32_e32 v106, 0xbf68dda4, v42
	;; [unrolled: 1-line block ×3, first 2 shown]
	v_add_f32_e32 v7, v98, v7
	v_fmamk_f32 v98, v60, 0xbf27a4f4, v104
	v_add_f32_e32 v10, v102, v10
	v_fmamk_f32 v102, v40, 0xbe903f40, v103
	v_mul_f32_e32 v108, 0xbf4178ce, v47
	v_mul_f32_e32 v107, 0x3f575c64, v46
	v_add_f32_e32 v7, v98, v7
	v_fmamk_f32 v98, v44, 0x3ed4b147, v106
	v_add_f32_e32 v10, v102, v10
	v_fmamk_f32 v102, v34, 0xbf7d64f0, v105
	v_mul_f32_e32 v109, 0x3f575c64, v17
	v_mul_f32_e32 v110, 0x3e903f40, v49
	;; [unrolled: 6-line block ×3, first 2 shown]
	v_add_f32_e32 v9, v98, v17
	v_fmamk_f32 v17, v51, 0xbf75a155, v110
	v_mul_f32_e32 v98, 0x3f7d64f0, v54
	v_add_f32_e32 v10, v102, v10
	v_fmamk_f32 v102, v22, 0x3f0a6770, v109
	v_add_f32_e32 v12, v12, v1
	v_add_f32_e32 v9, v17, v9
	v_fmamk_f32 v17, v56, 0xbe11bafb, v98
	v_fmamk_f32 v112, v2, 0x3f68dda4, v111
	v_add_f32_e32 v102, v1, v102
	v_mul_f32_e32 v39, 0xbe11bafb, v39
	v_mul_f32_e32 v42, 0xbf0a6770, v42
	v_add_f32_e32 v9, v17, v9
	v_fmamk_f32 v17, v60, 0x3f575c64, v113
	v_add_f32_e32 v12, v13, v12
	v_add_f32_e32 v13, v0, v14
	;; [unrolled: 1-line block ×3, first 2 shown]
	v_fmamk_f32 v112, v40, 0x3f7d64f0, v39
	v_mul_f32_e32 v41, 0xbf27a4f4, v41
	v_add_f32_e32 v9, v17, v9
	v_fmamk_f32 v17, v44, 0x3f575c64, v42
	v_mul_f32_e32 v47, 0xbf68dda4, v47
	v_add_f32_e32 v12, v36, v12
	v_add_f32_e32 v13, v19, v13
	;; [unrolled: 1-line block ×3, first 2 shown]
	v_fmamk_f32 v112, v34, 0x3f4178ce, v41
	v_mul_f32_e32 v36, 0xbf75a155, v46
	v_add_f32_e32 v17, v0, v17
	v_fmamk_f32 v19, v24, 0x3ed4b147, v47
	v_add_f32_e32 v12, v32, v12
	v_add_f32_e32 v11, v11, v13
	;; [unrolled: 1-line block ×3, first 2 shown]
	v_mul_f32_e32 v32, 0xbf7d64f0, v49
	v_fmamk_f32 v13, v50, 0x3e903f40, v36
	v_add_f32_e32 v17, v19, v17
	v_add_f32_e32 v19, v43, v12
	;; [unrolled: 1-line block ×3, first 2 shown]
	v_fmamk_f32 v33, v51, 0xbe11bafb, v32
	v_mul_f32_e32 v43, 0xbf4178ce, v54
	v_add_f32_e32 v12, v13, v14
	v_add_f32_e32 v13, v37, v19
	;; [unrolled: 1-line block ×4, first 2 shown]
	v_fmamk_f32 v17, v56, 0xbf27a4f4, v43
	v_mul_f32_e32 v19, 0xbe903f40, v58
	v_add_f32_e32 v13, v30, v13
	v_add_f32_e32 v11, v27, v11
	v_fmac_f32_e32 v21, 0xbe903f40, v22
	v_add_f32_e32 v14, v17, v14
	v_fmamk_f32 v17, v60, 0xbf75a155, v19
	v_add_f32_e32 v13, v38, v13
	v_add_f32_e32 v25, v29, v11
	v_add_f32_e32 v21, v1, v21
	v_fmac_f32_e32 v23, 0x3f0a6770, v2
	v_add_f32_e32 v11, v17, v14
	v_fma_f32 v14, 0xbf75a155, v44, -v45
	v_add_f32_e32 v13, v18, v13
	v_add_f32_e32 v17, v31, v25
	v_add_f32_e32 v18, v23, v21
	v_fmac_f32_e32 v35, 0xbf4178ce, v40
	v_add_f32_e32 v21, v0, v14
	v_fma_f32 v23, 0x3f575c64, v24, -v26
	;; [unrolled: 6-line block ×3, first 2 shown]
	v_add_f32_e32 v13, v15, v13
	v_fmac_f32_e32 v53, 0xbf4178ce, v22
	v_add_f32_e32 v15, v28, v16
	v_fmac_f32_e32 v48, 0xbf7d64f0, v50
	v_add_f32_e32 v17, v18, v17
	v_fma_f32 v18, 0x3ed4b147, v56, -v57
	v_add_f32_e32 v20, v1, v53
	v_fmac_f32_e32 v55, 0x3f7d64f0, v2
	v_add_f32_e32 v16, v48, v15
	v_fma_f32 v15, 0xbf27a4f4, v44, -v80
	v_add_f32_e32 v17, v18, v17
	v_fma_f32 v18, 0xbe11bafb, v60, -v61
	v_add_f32_e32 v20, v55, v20
	v_fmac_f32_e32 v59, 0xbf0a6770, v40
	v_add_f32_e32 v21, v0, v15
	v_fma_f32 v23, 0xbe11bafb, v24, -v82
	v_add_f32_e32 v15, v18, v17
	v_fmac_f32_e32 v79, 0xbe903f40, v34
	;; [unrolled: 4-line block ×3, first 2 shown]
	v_fmac_f32_e32 v81, 0x3f68dda4, v50
	v_add_f32_e32 v17, v79, v17
	v_fma_f32 v23, 0xbf75a155, v56, -v90
	v_add_f32_e32 v20, v20, v18
	v_add_f32_e32 v21, v1, v83
	v_fmac_f32_e32 v89, 0x3e903f40, v2
	v_add_f32_e32 v18, v81, v17
	v_fma_f32 v26, 0x3ed4b147, v60, -v92
	v_add_f32_e32 v17, v23, v20
	v_fmac_f32_e32 v91, 0x3f68dda4, v40
	v_add_f32_e32 v21, v89, v21
	v_fma_f32 v25, 0xbe11bafb, v44, -v94
	v_fmac_f32_e32 v95, 0xbf68dda4, v22
	v_add_f32_e32 v17, v26, v17
	v_fma_f32 v26, 0x3ed4b147, v44, -v106
	v_fmac_f32_e32 v109, 0xbf0a6770, v22
	v_fma_f32 v22, 0x3f575c64, v44, -v42
	v_add_f32_e32 v20, v91, v21
	v_add_f32_e32 v21, v0, v25
	v_fma_f32 v23, 0xbf75a155, v24, -v97
	v_fmac_f32_e32 v100, 0xbf4178ce, v2
	v_add_f32_e32 v26, v0, v26
	v_fmac_f32_e32 v111, 0xbf68dda4, v2
	v_add_f32_e32 v0, v0, v22
	v_fma_f32 v2, 0x3ed4b147, v24, -v47
	v_fma_f32 v27, 0xbf27a4f4, v24, -v108
	v_add_f32_e32 v25, v1, v95
	v_add_f32_e32 v1, v1, v109
	;; [unrolled: 1-line block ×3, first 2 shown]
	v_fma_f32 v23, 0x3ed4b147, v51, -v99
	v_add_f32_e32 v0, v2, v0
	v_fma_f32 v2, 0xbe11bafb, v51, -v32
	v_add_f32_e32 v22, v27, v26
	v_fma_f32 v24, 0xbf75a155, v51, -v110
	v_add_f32_e32 v25, v100, v25
	v_fmac_f32_e32 v103, 0x3e903f40, v40
	v_add_f32_e32 v1, v111, v1
	v_fmac_f32_e32 v39, 0xbf7d64f0, v40
	v_add_f32_e32 v21, v23, v21
	v_fma_f32 v23, 0x3f575c64, v56, -v101
	v_add_f32_e32 v0, v2, v0
	v_fma_f32 v2, 0xbf27a4f4, v56, -v43
	;; [unrolled: 2-line block ×3, first 2 shown]
	v_fmac_f32_e32 v93, 0xbf0a6770, v34
	v_add_f32_e32 v25, v103, v25
	v_fmac_f32_e32 v105, 0x3f7d64f0, v34
	v_add_f32_e32 v1, v39, v1
	;; [unrolled: 2-line block ×3, first 2 shown]
	v_fma_f32 v23, 0xbf27a4f4, v60, -v104
	v_add_f32_e32 v2, v2, v0
	v_fma_f32 v27, 0xbf75a155, v60, -v19
	v_add_f32_e32 v22, v24, v22
	;; [unrolled: 2-line block ×3, first 2 shown]
	v_fmac_f32_e32 v96, 0xbf4178ce, v50
	v_add_f32_e32 v25, v105, v25
	v_fmac_f32_e32 v107, 0x3f0a6770, v50
	v_add_f32_e32 v26, v41, v1
	;; [unrolled: 2-line block ×3, first 2 shown]
	v_add_f32_e32 v21, v27, v2
	v_add_nc_u32_e32 v2, 0x800, v85
	v_add_nc_u32_e32 v23, 0x1000, v85
	v_add_f32_e32 v0, v24, v22
	v_add_nc_u32_e32 v24, 0x1a00, v85
	v_add_f32_e32 v20, v96, v20
	v_add_f32_e32 v1, v107, v25
	v_add_nc_u32_e32 v25, 0x2400, v85
	v_add_f32_e32 v22, v36, v26
	ds_write2_b64 v85, v[13:14], v[11:12] offset1:147
	ds_write2_b64 v2, v[9:10], v[7:8] offset0:38 offset1:185
	ds_write2_b64 v23, v[5:6], v[3:4] offset0:76 offset1:223
	;; [unrolled: 1-line block ×4, first 2 shown]
	ds_write_b64 v85, v[21:22] offset:11760
.LBB0_21:
	s_or_b32 exec_lo, exec_lo, s1
	s_waitcnt lgkmcnt(0)
	s_barrier
	buffer_gl0_inv
	ds_read2_b64 v[0:3], v85 offset1:231
	v_mad_u64_u32 v[12:13], null, s10, v66, 0
	v_add_nc_u32_e32 v4, 0x1080, v85
	v_mad_u64_u32 v[14:15], null, s8, v88, 0
	v_add_nc_u32_e32 v8, 0x2100, v85
	ds_read2_b64 v[4:7], v4 offset0:11 offset1:242
	ds_read2_b64 v[8:11], v8 offset0:22 offset1:253
	s_mov_b32 s2, 0x929a339d
	v_mad_u64_u32 v[16:17], null, s11, v66, v[13:14]
	s_mov_b32 s3, 0x3f4443c2
	s_mul_hi_u32 s1, s8, 0x21b
	v_mad_u64_u32 v[17:18], null, s9, v88, v[15:16]
	s_waitcnt lgkmcnt(2)
	v_mul_f32_e32 v19, v68, v1
	v_mul_f32_e32 v13, v68, v0
	v_mul_f32_e32 v20, v70, v3
	v_mul_f32_e32 v21, v70, v2
	v_fmac_f32_e32 v19, v67, v0
	v_fma_f32 v15, v67, v1, -v13
	v_mov_b32_e32 v13, v16
	s_waitcnt lgkmcnt(1)
	v_mul_f32_e32 v16, v78, v5
	s_waitcnt lgkmcnt(0)
	v_mul_f32_e32 v22, v72, v9
	v_cvt_f64_f32_e32 v[0:1], v19
	v_cvt_f64_f32_e32 v[18:19], v15
	v_mov_b32_e32 v15, v17
	v_mul_f32_e32 v17, v78, v4
	v_fmac_f32_e32 v16, v77, v4
	v_mul_f32_e32 v23, v72, v8
	v_fmac_f32_e32 v20, v69, v2
	v_fma_f32 v24, v69, v3, -v21
	v_fma_f32 v4, v77, v5, -v17
	v_mul_f32_e32 v25, v74, v7
	v_mul_f32_e32 v26, v74, v6
	v_cvt_f64_f32_e32 v[2:3], v16
	v_fmac_f32_e32 v22, v71, v8
	v_cvt_f64_f32_e32 v[4:5], v4
	v_mul_f32_e32 v27, v76, v11
	v_mul_f32_e32 v28, v76, v10
	v_fma_f32 v21, v71, v9, -v23
	v_cvt_f64_f32_e32 v[16:17], v22
	v_cvt_f64_f32_e32 v[22:23], v24
	v_fmac_f32_e32 v25, v73, v6
	v_fma_f32 v24, v73, v7, -v26
	v_fmac_f32_e32 v27, v75, v10
	v_fma_f32 v26, v75, v11, -v28
	v_cvt_f64_f32_e32 v[8:9], v20
	v_cvt_f64_f32_e32 v[20:21], v21
	v_mul_f64 v[0:1], v[0:1], s[2:3]
	v_mul_f64 v[18:19], v[18:19], s[2:3]
	v_lshlrev_b64 v[6:7], 3, v[14:15]
	v_cvt_f64_f32_e32 v[10:11], v25
	v_cvt_f64_f32_e32 v[14:15], v24
	;; [unrolled: 1-line block ×4, first 2 shown]
	v_lshlrev_b64 v[12:13], 3, v[12:13]
	v_mul_f64 v[2:3], v[2:3], s[2:3]
	v_mul_f64 v[4:5], v[4:5], s[2:3]
	v_add_co_u32 v28, s0, s6, v12
	v_add_co_ci_u32_e64 v29, s0, s7, v13, s0
	v_mul_f64 v[12:13], v[16:17], s[2:3]
	v_add_co_u32 v6, s0, v28, v6
	v_mul_f64 v[8:9], v[8:9], s[2:3]
	v_mul_f64 v[16:17], v[20:21], s[2:3]
	v_cvt_f32_f64_e32 v0, v[0:1]
	v_cvt_f32_f64_e32 v1, v[18:19]
	v_mul_f64 v[18:19], v[22:23], s[2:3]
	v_mul_f64 v[10:11], v[10:11], s[2:3]
	;; [unrolled: 1-line block ×5, first 2 shown]
	v_add_co_ci_u32_e64 v7, s0, v29, v7, s0
	s_mul_i32 s0, s9, 0x21b
	v_cvt_f32_f64_e32 v2, v[2:3]
	s_add_i32 s1, s1, s0
	s_mul_i32 s0, s8, 0x21b
	v_cvt_f32_f64_e32 v3, v[4:5]
	s_lshl_b64 s[4:5], s[0:1], 3
	s_mul_i32 s1, s9, 0xfffffcb1
	v_add_co_u32 v4, s0, v6, s4
	v_add_co_ci_u32_e64 v5, s0, s5, v7, s0
	s_mul_hi_u32 s0, s8, 0xfffffcb1
	v_cvt_f32_f64_e32 v12, v[12:13]
	s_sub_i32 s0, s0, s8
	v_cvt_f32_f64_e32 v13, v[16:17]
	s_add_i32 s7, s0, s1
	v_add_co_u32 v16, s0, v4, s4
	s_mul_i32 s6, s8, 0xfffffcb1
	v_cvt_f32_f64_e32 v8, v[8:9]
	v_cvt_f32_f64_e32 v9, v[18:19]
	v_add_co_ci_u32_e64 v17, s0, s5, v5, s0
	v_cvt_f32_f64_e32 v10, v[10:11]
	v_cvt_f32_f64_e32 v11, v[14:15]
	s_lshl_b64 s[6:7], s[6:7], 3
	v_cvt_f32_f64_e32 v14, v[20:21]
	v_cvt_f32_f64_e32 v15, v[22:23]
	v_add_co_u32 v18, s0, v16, s6
	v_add_co_ci_u32_e64 v19, s0, s7, v17, s0
	global_store_dwordx2 v[6:7], v[0:1], off
	v_add_co_u32 v20, s0, v18, s4
	v_add_co_ci_u32_e64 v21, s0, s5, v19, s0
	v_add_co_u32 v0, s0, v20, s4
	v_add_co_ci_u32_e64 v1, s0, s5, v21, s0
	global_store_dwordx2 v[4:5], v[2:3], off
	global_store_dwordx2 v[16:17], v[12:13], off
	;; [unrolled: 1-line block ×5, first 2 shown]
	s_and_b32 exec_lo, exec_lo, vcc_lo
	s_cbranch_execz .LBB0_23
; %bb.22:
	v_add_co_u32 v2, vcc_lo, 0x800, v86
	v_add_co_ci_u32_e32 v3, vcc_lo, 0, v87, vcc_lo
	v_add_co_u32 v0, vcc_lo, v0, s6
	v_add_co_ci_u32_e32 v1, vcc_lo, s7, v1, vcc_lo
	s_clause 0x2
	global_load_dwordx2 v[2:3], v[2:3], off offset:1648
	global_load_dwordx2 v[4:5], v[64:65], off offset:1864
	;; [unrolled: 1-line block ×3, first 2 shown]
	ds_read_b64 v[8:9], v85 offset:3696
	ds_read_b64 v[10:11], v85 offset:8008
	;; [unrolled: 1-line block ×3, first 2 shown]
	s_waitcnt vmcnt(2) lgkmcnt(2)
	v_mul_f32_e32 v14, v9, v3
	v_mul_f32_e32 v3, v8, v3
	s_waitcnt vmcnt(1) lgkmcnt(1)
	v_mul_f32_e32 v15, v11, v5
	v_mul_f32_e32 v5, v10, v5
	;; [unrolled: 3-line block ×3, first 2 shown]
	v_fmac_f32_e32 v14, v8, v2
	v_fma_f32 v8, v2, v9, -v3
	v_fmac_f32_e32 v15, v10, v4
	v_fma_f32 v9, v4, v11, -v5
	;; [unrolled: 2-line block ×3, first 2 shown]
	v_cvt_f64_f32_e32 v[2:3], v14
	v_cvt_f64_f32_e32 v[4:5], v8
	;; [unrolled: 1-line block ×6, first 2 shown]
	v_mul_f64 v[2:3], v[2:3], s[2:3]
	v_mul_f64 v[4:5], v[4:5], s[2:3]
	;; [unrolled: 1-line block ×6, first 2 shown]
	v_cvt_f32_f64_e32 v2, v[2:3]
	v_cvt_f32_f64_e32 v3, v[4:5]
	;; [unrolled: 1-line block ×6, first 2 shown]
	v_add_co_u32 v8, vcc_lo, v0, s4
	v_add_co_ci_u32_e32 v9, vcc_lo, s5, v1, vcc_lo
	v_add_co_u32 v10, vcc_lo, v8, s4
	v_add_co_ci_u32_e32 v11, vcc_lo, s5, v9, vcc_lo
	global_store_dwordx2 v[0:1], v[2:3], off
	global_store_dwordx2 v[8:9], v[4:5], off
	;; [unrolled: 1-line block ×3, first 2 shown]
.LBB0_23:
	s_endpgm
	.section	.rodata,"a",@progbits
	.p2align	6, 0x0
	.amdhsa_kernel bluestein_single_back_len1617_dim1_sp_op_CI_CI
		.amdhsa_group_segment_fixed_size 12936
		.amdhsa_private_segment_fixed_size 0
		.amdhsa_kernarg_size 104
		.amdhsa_user_sgpr_count 6
		.amdhsa_user_sgpr_private_segment_buffer 1
		.amdhsa_user_sgpr_dispatch_ptr 0
		.amdhsa_user_sgpr_queue_ptr 0
		.amdhsa_user_sgpr_kernarg_segment_ptr 1
		.amdhsa_user_sgpr_dispatch_id 0
		.amdhsa_user_sgpr_flat_scratch_init 0
		.amdhsa_user_sgpr_private_segment_size 0
		.amdhsa_wavefront_size32 1
		.amdhsa_uses_dynamic_stack 0
		.amdhsa_system_sgpr_private_segment_wavefront_offset 0
		.amdhsa_system_sgpr_workgroup_id_x 1
		.amdhsa_system_sgpr_workgroup_id_y 0
		.amdhsa_system_sgpr_workgroup_id_z 0
		.amdhsa_system_sgpr_workgroup_info 0
		.amdhsa_system_vgpr_workitem_id 0
		.amdhsa_next_free_vgpr 200
		.amdhsa_next_free_sgpr 16
		.amdhsa_reserve_vcc 1
		.amdhsa_reserve_flat_scratch 0
		.amdhsa_float_round_mode_32 0
		.amdhsa_float_round_mode_16_64 0
		.amdhsa_float_denorm_mode_32 3
		.amdhsa_float_denorm_mode_16_64 3
		.amdhsa_dx10_clamp 1
		.amdhsa_ieee_mode 1
		.amdhsa_fp16_overflow 0
		.amdhsa_workgroup_processor_mode 1
		.amdhsa_memory_ordered 1
		.amdhsa_forward_progress 0
		.amdhsa_shared_vgpr_count 0
		.amdhsa_exception_fp_ieee_invalid_op 0
		.amdhsa_exception_fp_denorm_src 0
		.amdhsa_exception_fp_ieee_div_zero 0
		.amdhsa_exception_fp_ieee_overflow 0
		.amdhsa_exception_fp_ieee_underflow 0
		.amdhsa_exception_fp_ieee_inexact 0
		.amdhsa_exception_int_div_zero 0
	.end_amdhsa_kernel
	.text
.Lfunc_end0:
	.size	bluestein_single_back_len1617_dim1_sp_op_CI_CI, .Lfunc_end0-bluestein_single_back_len1617_dim1_sp_op_CI_CI
                                        ; -- End function
	.section	.AMDGPU.csdata,"",@progbits
; Kernel info:
; codeLenInByte = 11288
; NumSgprs: 18
; NumVgprs: 200
; ScratchSize: 0
; MemoryBound: 0
; FloatMode: 240
; IeeeMode: 1
; LDSByteSize: 12936 bytes/workgroup (compile time only)
; SGPRBlocks: 2
; VGPRBlocks: 24
; NumSGPRsForWavesPerEU: 18
; NumVGPRsForWavesPerEU: 200
; Occupancy: 4
; WaveLimiterHint : 1
; COMPUTE_PGM_RSRC2:SCRATCH_EN: 0
; COMPUTE_PGM_RSRC2:USER_SGPR: 6
; COMPUTE_PGM_RSRC2:TRAP_HANDLER: 0
; COMPUTE_PGM_RSRC2:TGID_X_EN: 1
; COMPUTE_PGM_RSRC2:TGID_Y_EN: 0
; COMPUTE_PGM_RSRC2:TGID_Z_EN: 0
; COMPUTE_PGM_RSRC2:TIDIG_COMP_CNT: 0
	.text
	.p2alignl 6, 3214868480
	.fill 48, 4, 3214868480
	.type	__hip_cuid_e185fb33bdc81d99,@object ; @__hip_cuid_e185fb33bdc81d99
	.section	.bss,"aw",@nobits
	.globl	__hip_cuid_e185fb33bdc81d99
__hip_cuid_e185fb33bdc81d99:
	.byte	0                               ; 0x0
	.size	__hip_cuid_e185fb33bdc81d99, 1

	.ident	"AMD clang version 19.0.0git (https://github.com/RadeonOpenCompute/llvm-project roc-6.4.0 25133 c7fe45cf4b819c5991fe208aaa96edf142730f1d)"
	.section	".note.GNU-stack","",@progbits
	.addrsig
	.addrsig_sym __hip_cuid_e185fb33bdc81d99
	.amdgpu_metadata
---
amdhsa.kernels:
  - .args:
      - .actual_access:  read_only
        .address_space:  global
        .offset:         0
        .size:           8
        .value_kind:     global_buffer
      - .actual_access:  read_only
        .address_space:  global
        .offset:         8
        .size:           8
        .value_kind:     global_buffer
      - .actual_access:  read_only
        .address_space:  global
        .offset:         16
        .size:           8
        .value_kind:     global_buffer
      - .actual_access:  read_only
        .address_space:  global
        .offset:         24
        .size:           8
        .value_kind:     global_buffer
      - .actual_access:  read_only
        .address_space:  global
        .offset:         32
        .size:           8
        .value_kind:     global_buffer
      - .offset:         40
        .size:           8
        .value_kind:     by_value
      - .address_space:  global
        .offset:         48
        .size:           8
        .value_kind:     global_buffer
      - .address_space:  global
        .offset:         56
        .size:           8
        .value_kind:     global_buffer
      - .address_space:  global
        .offset:         64
        .size:           8
        .value_kind:     global_buffer
      - .address_space:  global
        .offset:         72
        .size:           8
        .value_kind:     global_buffer
      - .offset:         80
        .size:           4
        .value_kind:     by_value
      - .address_space:  global
        .offset:         88
        .size:           8
        .value_kind:     global_buffer
      - .address_space:  global
        .offset:         96
        .size:           8
        .value_kind:     global_buffer
    .group_segment_fixed_size: 12936
    .kernarg_segment_align: 8
    .kernarg_segment_size: 104
    .language:       OpenCL C
    .language_version:
      - 2
      - 0
    .max_flat_workgroup_size: 231
    .name:           bluestein_single_back_len1617_dim1_sp_op_CI_CI
    .private_segment_fixed_size: 0
    .sgpr_count:     18
    .sgpr_spill_count: 0
    .symbol:         bluestein_single_back_len1617_dim1_sp_op_CI_CI.kd
    .uniform_work_group_size: 1
    .uses_dynamic_stack: false
    .vgpr_count:     200
    .vgpr_spill_count: 0
    .wavefront_size: 32
    .workgroup_processor_mode: 1
amdhsa.target:   amdgcn-amd-amdhsa--gfx1030
amdhsa.version:
  - 1
  - 2
...

	.end_amdgpu_metadata
